;; amdgpu-corpus repo=zjin-lcf/HeCBench kind=compiled arch=gfx1250 opt=O3
	.amdgcn_target "amdgcn-amd-amdhsa--gfx1250"
	.amdhsa_code_object_version 6
	.section	.text._Z17fused_4bit_kernelIfLi64EEvPT_PKS0_S1_S1_PaS4_fffffflffffff,"axG",@progbits,_Z17fused_4bit_kernelIfLi64EEvPT_PKS0_S1_S1_PaS4_fffffflffffff,comdat
	.protected	_Z17fused_4bit_kernelIfLi64EEvPT_PKS0_S1_S1_PaS4_fffffflffffff ; -- Begin function _Z17fused_4bit_kernelIfLi64EEvPT_PKS0_S1_S1_PaS4_fffffflffffff
	.globl	_Z17fused_4bit_kernelIfLi64EEvPT_PKS0_S1_S1_PaS4_fffffflffffff
	.p2align	8
	.type	_Z17fused_4bit_kernelIfLi64EEvPT_PKS0_S1_S1_PaS4_fffffflffffff,@function
_Z17fused_4bit_kernelIfLi64EEvPT_PKS0_S1_S1_PaS4_fffffflffffff: ; @_Z17fused_4bit_kernelIfLi64EEvPT_PKS0_S1_S1_PaS4_fffffflffffff
; %bb.0:
	s_clause 0x1
	s_load_b32 s4, s[0:1], 0x74
	s_load_b64 s[2:3], s[0:1], 0x48
	s_bfe_u32 s5, ttmp6, 0x4000c
	s_and_b32 s6, ttmp6, 15
	s_add_co_i32 s5, s5, 1
	s_getreg_b32 s7, hwreg(HW_REG_IB_STS2, 6, 4)
	s_mul_i32 s5, ttmp9, s5
	v_mov_b32_e32 v9, 0
	s_add_co_i32 s6, s6, s5
	s_cmp_eq_u32 s7, 0
	s_mov_b32 s17, 0
	s_cselect_b32 s16, ttmp9, s6
	s_wait_kmcnt 0x0
	s_and_b32 s4, s4, 0xffff
	s_delay_alu instid0(SALU_CYCLE_1) | instskip(NEXT) | instid1(VALU_DEP_1)
	v_mad_u32 v8, s16, s4, v0
	v_cmp_gt_i64_e32 vcc_lo, s[2:3], v[8:9]
	s_and_saveexec_b32 s2, vcc_lo
	s_cbranch_execz .LBB0_32
; %bb.1:
	s_clause 0x1
	s_load_b128 s[4:7], s[0:1], 0x20
	s_load_b64 s[18:19], s[0:1], 0x30
	v_lshlrev_b64_e32 v[6:7], 3, v[8:9]
	s_get_pc_i64 s[12:13]
	s_add_nc_u64 s[12:13], s[12:13], _ZL8_sq_qmap@rel64+4
	s_get_pc_i64 s[14:15]
	s_add_nc_u64 s[14:15], s[14:15], _ZL9_exp_qmap@rel64+4
	s_wait_kmcnt 0x0
	v_add_nc_u64_e32 v[2:3], s[6:7], v[8:9]
	v_add_nc_u64_e32 v[4:5], s[4:5], v[8:9]
	s_load_b256 s[4:11], s[0:1], 0x0
	global_load_u8 v1, v[2:3], off
	global_load_u8 v12, v[4:5], off
	s_wait_kmcnt 0x0
	v_add_nc_u64_e32 v[10:11], s[6:7], v[6:7]
	global_load_b64 v[16:17], v[10:11], off
	s_wait_xcnt 0x0
	v_add_nc_u64_e32 v[10:11], s[4:5], v[6:7]
	s_load_b128 s[4:7], s[0:1], 0x54
	s_wait_loadcnt 0x2
	v_and_b32_e32 v8, 15, v1
	v_lshrrev_b16 v1, 4, v1
	s_delay_alu instid0(VALU_DEP_2) | instskip(NEXT) | instid1(VALU_DEP_2)
	v_and_b32_e32 v8, 0xffff, v8
	v_and_b32_e32 v1, 0xffff, v1
	s_clause 0x1
	global_load_b32 v15, v8, s[12:13] scale_offset
	global_load_b32 v19, v1, s[12:13] scale_offset
	s_wait_loadcnt 0x3
	s_wait_xcnt 0x0
	v_and_b32_e32 v1, 15, v12
	v_lshrrev_b16 v8, 4, v12
	s_delay_alu instid0(VALU_DEP_1)
	v_and_b32_e32 v8, 0xffff, v8
	s_wait_loadcnt 0x2
	v_mov_b32_e32 v14, v16
	v_and_b32_e32 v1, 0xffff, v1
	v_dual_mov_b32 v6, v16 :: v_dual_mov_b32 v18, v17
	s_clause 0x1
	global_load_b32 v20, v1, s[14:15] scale_offset
	global_load_b32 v21, v8, s[14:15] scale_offset
	global_load_b64 v[12:13], v[10:11], off
	s_load_b32 s3, s[10:11], s16 offset:0x0 scale_offset
	s_load_b32 s2, s[0:1], 0x64
	s_load_b32 s20, s[8:9], s16 offset:0x0 scale_offset
	s_wait_kmcnt 0x0
	v_mov_b32_e32 v7, s3
	s_mov_b32 s3, s19
	s_load_b32 s0, s[0:1], 0x40
	v_mov_b64_e32 v[22:23], s[2:3]
	s_wait_loadcnt 0x4
	v_pk_mul_f32 v[14:15], v[14:15], v[6:7]
	s_delay_alu instid0(VALU_DEP_1) | instskip(NEXT) | instid1(VALU_DEP_1)
	v_pk_mul_f32 v[14:15], v[22:23], v[14:15]
	v_dual_mov_b32 v6, v17 :: v_dual_add_f32 v14, v14, v15
	s_wait_loadcnt 0x3
	s_delay_alu instid0(VALU_DEP_1) | instskip(NEXT) | instid1(VALU_DEP_2)
	v_pk_mul_f32 v[6:7], v[6:7], v[18:19]
	v_cmp_gt_f32_e32 vcc_lo, 0xf800000, v14
	s_delay_alu instid0(VALU_DEP_2) | instskip(NEXT) | instid1(VALU_DEP_1)
	v_pk_mul_f32 v[6:7], v[22:23], v[6:7]
	v_dual_add_f32 v1, v6, v7 :: v_dual_mul_f32 v6, 0x4f800000, v14
	s_delay_alu instid0(VALU_DEP_1) | instskip(SKIP_1) | instid1(VALU_DEP_2)
	v_dual_mul_f32 v7, 0x4f800000, v1 :: v_dual_cndmask_b32 v6, v14, v6
	v_cmp_gt_f32_e64 s2, 0xf800000, v1
	v_sqrt_f32_e32 v8, v6
	v_nop
	s_delay_alu instid0(TRANS32_DEP_1) | instskip(NEXT) | instid1(VALU_DEP_1)
	v_dual_cndmask_b32 v7, v1, v7, s2 :: v_dual_add_nc_u32 v18, -1, v8
	v_sqrt_f32_e32 v15, v7
	s_delay_alu instid0(VALU_DEP_1)
	v_dual_add_nc_u32 v22, 1, v8 :: v_dual_fma_f32 v23, -v18, v8, v6
	s_delay_alu instid0(TRANS32_DEP_1) | instid1(VALU_DEP_1)
	v_dual_fma_f32 v26, -v22, v8, v6 :: v_dual_add_nc_u32 v19, -1, v15
	v_add_nc_u32_e32 v24, 1, v15
	s_delay_alu instid0(VALU_DEP_3) | instskip(NEXT) | instid1(VALU_DEP_1)
	v_cmp_ge_f32_e64 s3, 0, v23
	v_dual_fma_f32 v25, -v19, v15, v7 :: v_dual_cndmask_b32 v8, v8, v18, s3
	s_delay_alu instid0(VALU_DEP_3) | instskip(NEXT) | instid1(VALU_DEP_2)
	v_fma_f32 v18, -v24, v15, v7
	v_cmp_ge_f32_e64 s3, 0, v25
	s_delay_alu instid0(VALU_DEP_1) | instskip(SKIP_1) | instid1(VALU_DEP_1)
	v_cndmask_b32_e64 v15, v15, v19, s3
	v_cmp_lt_f32_e64 s3, 0, v26
	v_cndmask_b32_e64 v8, v8, v22, s3
	v_cmp_lt_f32_e64 s3, 0, v18
	s_delay_alu instid0(VALU_DEP_1) | instskip(NEXT) | instid1(VALU_DEP_1)
	v_cndmask_b32_e64 v15, v15, v24, s3
	v_mul_f32_e32 v19, 0x37800000, v15
	s_delay_alu instid0(VALU_DEP_1) | instskip(SKIP_2) | instid1(VALU_DEP_1)
	v_cndmask_b32_e64 v15, v15, v19, s2
	v_mul_f32_e32 v18, 0x37800000, v8
	s_mov_b32 s2, s7
	v_cndmask_b32_e32 v8, v8, v18, vcc_lo
	v_cmp_class_f32_e64 vcc_lo, v6, 0x260
	s_delay_alu instid0(VALU_DEP_2) | instskip(SKIP_1) | instid1(VALU_DEP_2)
	v_cndmask_b32_e32 v8, v8, v6, vcc_lo
	v_cmp_class_f32_e64 vcc_lo, v7, 0x260
	v_div_scale_f32 v18, null, s4, s4, v8
	v_cndmask_b32_e32 v15, v15, v7, vcc_lo
	s_wait_loadcnt 0x1
	v_pk_mul_f32 v[6:7], s[20:21], v[20:21] op_sel_hi:[0,1]
	s_delay_alu instid0(VALU_DEP_3) | instskip(NEXT) | instid1(VALU_DEP_2)
	v_rcp_f32_e32 v20, v18
	v_div_scale_f32 v19, null, s4, s4, v15
	s_delay_alu instid0(VALU_DEP_2) | instskip(NEXT) | instid1(VALU_DEP_2)
	v_pk_mul_f32 v[6:7], s[18:19], v[6:7] op_sel_hi:[0,1]
	v_rcp_f32_e32 v21, v19
	s_delay_alu instid0(TRANS32_DEP_2) | instskip(NEXT) | instid1(VALU_DEP_2)
	v_fma_f32 v22, -v18, v20, 1.0
	v_pk_fma_f32 v[6:7], s[2:3], v[16:17], v[6:7] op_sel_hi:[0,1,1]
	s_delay_alu instid0(VALU_DEP_2) | instskip(NEXT) | instid1(TRANS32_DEP_1)
	v_fmac_f32_e32 v20, v22, v20
	v_fma_f32 v16, -v19, v21, 1.0
	v_div_scale_f32 v17, vcc_lo, v8, s4, v8
	v_div_scale_f32 v22, s2, v15, s4, v15
	s_delay_alu instid0(VALU_DEP_2) | instskip(NEXT) | instid1(VALU_DEP_1)
	v_dual_fmac_f32 v21, v16, v21 :: v_dual_mul_f32 v16, v17, v20
	v_fma_f32 v25, -v18, v16, v17
	s_delay_alu instid0(VALU_DEP_1) | instskip(NEXT) | instid1(VALU_DEP_1)
	v_dual_mul_f32 v24, v22, v21 :: v_dual_fmac_f32 v16, v25, v20
	v_dual_max_num_f32 v23, v6, v7 :: v_dual_fma_f32 v27, -v19, v24, v22
	s_delay_alu instid0(VALU_DEP_1) | instskip(NEXT) | instid1(VALU_DEP_2)
	v_mov_b32_dpp v26, v23 quad_perm:[1,0,3,2] row_mask:0xf bank_mask:0xf
	v_fmac_f32_e32 v24, v27, v21
	s_delay_alu instid0(VALU_DEP_2) | instskip(NEXT) | instid1(VALU_DEP_1)
	v_cmp_gt_f32_e64 s3, v23, v26
	v_dual_fma_f32 v19, -v19, v24, v22 :: v_dual_cndmask_b32 v23, v26, v23, s3
	v_fma_f32 v17, -v18, v16, v17
	s_delay_alu instid0(VALU_DEP_2) | instskip(NEXT) | instid1(VALU_DEP_2)
	v_mov_b32_dpp v18, v23 quad_perm:[2,3,0,1] row_mask:0xf bank_mask:0xf
	v_div_fmas_f32 v16, v17, v20, v16
	s_mov_b32 vcc_lo, s2
	v_div_fmas_f32 v17, v19, v21, v24
	s_delay_alu instid0(VALU_DEP_3) | instskip(NEXT) | instid1(VALU_DEP_3)
	v_cmp_gt_f32_e32 vcc_lo, v23, v18
	v_div_fixup_f32 v16, v16, s4, v8
	s_delay_alu instid0(VALU_DEP_3) | instskip(SKIP_2) | instid1(VALU_DEP_2)
	v_div_fixup_f32 v17, v17, s4, v15
	v_cndmask_b32_e32 v18, v18, v23, vcc_lo
	s_wait_kmcnt 0x0
	v_pk_add_f32 v[16:17], s[0:1], v[16:17] op_sel_hi:[0,1]
	s_delay_alu instid0(VALU_DEP_2) | instskip(NEXT) | instid1(VALU_DEP_2)
	v_mov_b32_dpp v8, v18 row_ror:4 row_mask:0xf bank_mask:0xf
	v_div_scale_f32 v15, null, v17, v17, v7
	s_delay_alu instid0(VALU_DEP_2) | instskip(NEXT) | instid1(VALU_DEP_2)
	v_cmp_gt_f32_e32 vcc_lo, v18, v8
	v_rcp_f32_e32 v20, v15
	v_cndmask_b32_e32 v8, v8, v18, vcc_lo
	v_div_scale_f32 v18, null, v16, v16, v6
	s_delay_alu instid0(VALU_DEP_2) | instskip(NEXT) | instid1(VALU_DEP_2)
	v_mov_b32_dpp v19, v8 row_ror:8 row_mask:0xf bank_mask:0xf
	v_rcp_f32_e32 v21, v18
	s_delay_alu instid0(VALU_DEP_1) | instskip(NEXT) | instid1(TRANS32_DEP_1)
	v_cmp_gt_f32_e32 vcc_lo, v8, v19
	v_fma_f32 v23, -v18, v21, 1.0
	s_delay_alu instid0(VALU_DEP_1) | instskip(SKIP_3) | instid1(VALU_DEP_2)
	v_fmac_f32_e32 v21, v23, v21
	v_cndmask_b32_e32 v8, v19, v8, vcc_lo
	v_fma_f32 v19, -v15, v20, 1.0
	v_div_scale_f32 v24, vcc_lo, v7, v17, v7
	v_fmac_f32_e32 v20, v19, v20
	v_div_scale_f32 v19, s0, v6, v16, v6
	s_delay_alu instid0(VALU_DEP_1) | instskip(SKIP_2) | instid1(VALU_DEP_1)
	v_dual_mul_f32 v23, v24, v20 :: v_dual_mul_f32 v25, v19, v21
	ds_swizzle_b32 v22, v8 offset:swizzle(BROADCAST,32,15)
	v_dual_fma_f32 v26, -v15, v23, v24 :: v_dual_fma_f32 v27, -v18, v25, v19
	v_dual_fmac_f32 v23, v26, v20 :: v_dual_fmac_f32 v25, v27, v21
	s_delay_alu instid0(VALU_DEP_1) | instskip(SKIP_2) | instid1(VALU_DEP_1)
	v_fma_f32 v18, -v18, v25, v19
	s_wait_dscnt 0x0
	v_cmp_gt_f32_e64 s1, v8, v22
	v_dual_fma_f32 v15, -v15, v23, v24 :: v_dual_cndmask_b32 v8, v22, v8, s1
	s_delay_alu instid0(VALU_DEP_1)
	v_div_fmas_f32 v15, v15, v20, v23
	s_mov_b32 vcc_lo, s0
	v_div_fmas_f32 v20, v18, v21, v25
	ds_bpermute_b32 v8, v9, v8 offset:124
	v_mov_b64_e32 v[18:19], s[4:5]
	v_div_fixup_f32 v17, v15, v17, v7
	v_mbcnt_lo_u32_b32 v15, -1, 0
	v_div_fixup_f32 v16, v20, v16, v6
	s_delay_alu instid0(VALU_DEP_2) | instskip(NEXT) | instid1(VALU_DEP_2)
	v_cmp_eq_u32_e32 vcc_lo, 0, v15
	v_pk_mul_f32 v[16:17], v[18:19], v[16:17] op_sel:[1,0]
	s_wait_loadcnt 0x0
	s_delay_alu instid0(VALU_DEP_1)
	v_pk_fma_f32 v[16:17], s[6:7], v[12:13], v[16:17] op_sel_hi:[0,1,1] neg_lo:[0,0,1] neg_hi:[0,0,1]
	v_lshrrev_b32_e32 v12, 3, v0
	global_store_b64 v[10:11], v[16:17], off
	s_wait_xcnt 0x0
	s_and_saveexec_b32 s0, vcc_lo
	s_cbranch_execz .LBB0_3
; %bb.2:
	v_and_b32_e32 v9, 0x7c, v12
	s_wait_dscnt 0x0
	ds_store_b32 v9, v8
.LBB0_3:
	s_or_b32 exec_lo, exec_lo, s0
	v_dual_mov_b32 v9, 0x7c :: v_dual_lshlrev_b32 v10, 2, v15
	v_cmp_gt_u32_e64 s0, 32, v0
	v_and_b32_e32 v11, 1, v15
	s_wait_storecnt_dscnt 0x0
	s_delay_alu instid0(VALU_DEP_3)
	v_or_b32_e32 v10, 4, v10
	s_barrier_signal -1
	s_barrier_wait -1
	s_and_saveexec_b32 s2, s0
	s_cbranch_execz .LBB0_5
; %bb.4:
	v_lshlrev_b32_e32 v8, 2, v11
	ds_load_b32 v8, v8
	s_wait_dscnt 0x0
	ds_bpermute_b32 v13, v10, v8
	s_wait_dscnt 0x0
	v_cmp_lt_f32_e64 s1, v8, v13
	s_delay_alu instid0(VALU_DEP_1)
	v_cndmask_b32_e64 v8, v8, v13, s1
.LBB0_5:
	s_or_b32 exec_lo, exec_lo, s2
	v_dual_max_num_f32 v13, v1, v1 :: v_dual_max_num_f32 v15, v14, v14
	s_delay_alu instid0(VALU_DEP_1) | instskip(NEXT) | instid1(VALU_DEP_1)
	v_max_num_f32_e32 v13, v15, v13
	v_mov_b32_dpp v15, v13 quad_perm:[1,0,3,2] row_mask:0xf bank_mask:0xf
	s_delay_alu instid0(VALU_DEP_1) | instskip(NEXT) | instid1(VALU_DEP_1)
	v_cmp_gt_f32_e64 s1, v13, v15
	v_cndmask_b32_e64 v13, v15, v13, s1
	s_delay_alu instid0(VALU_DEP_1) | instskip(NEXT) | instid1(VALU_DEP_1)
	v_mov_b32_dpp v15, v13 quad_perm:[2,3,0,1] row_mask:0xf bank_mask:0xf
	v_cmp_gt_f32_e64 s1, v13, v15
	s_delay_alu instid0(VALU_DEP_1) | instskip(NEXT) | instid1(VALU_DEP_1)
	v_cndmask_b32_e64 v13, v15, v13, s1
	v_mov_b32_dpp v15, v13 row_ror:4 row_mask:0xf bank_mask:0xf
	s_delay_alu instid0(VALU_DEP_1) | instskip(NEXT) | instid1(VALU_DEP_1)
	v_cmp_gt_f32_e64 s1, v13, v15
	v_cndmask_b32_e64 v13, v15, v13, s1
	s_delay_alu instid0(VALU_DEP_1) | instskip(NEXT) | instid1(VALU_DEP_1)
	v_mov_b32_dpp v15, v13 row_ror:8 row_mask:0xf bank_mask:0xf
	v_cmp_gt_f32_e64 s1, v13, v15
	s_delay_alu instid0(VALU_DEP_1) | instskip(SKIP_3) | instid1(VALU_DEP_1)
	v_cndmask_b32_e64 v13, v15, v13, s1
	ds_swizzle_b32 v15, v13 offset:swizzle(BROADCAST,32,15)
	s_wait_dscnt 0x0
	v_cmp_gt_f32_e64 s1, v13, v15
	v_cndmask_b32_e64 v13, v15, v13, s1
	ds_bpermute_b32 v9, v9, v13
	s_and_saveexec_b32 s1, vcc_lo
	s_cbranch_execz .LBB0_7
; %bb.6:
	v_and_b32_e32 v12, 0x7c, v12
	s_wait_dscnt 0x0
	ds_store_b32 v12, v9 offset:8
.LBB0_7:
	s_or_b32 exec_lo, exec_lo, s1
	s_wait_dscnt 0x0
	s_barrier_signal -1
	s_barrier_wait -1
	s_and_saveexec_b32 s1, s0
	s_cbranch_execz .LBB0_9
; %bb.8:
	v_lshlrev_b32_e32 v9, 2, v11
	ds_load_b32 v9, v9 offset:8
	s_wait_dscnt 0x0
	ds_bpermute_b32 v10, v10, v9
	s_wait_dscnt 0x0
	v_cmp_lt_f32_e32 vcc_lo, v9, v10
	v_cndmask_b32_e32 v9, v9, v10, vcc_lo
.LBB0_9:
	s_or_b32 exec_lo, exec_lo, s1
	s_delay_alu instid0(SALU_CYCLE_1)
	s_mov_b32 s0, exec_lo
	v_cmpx_eq_u32_e32 0, v0
	s_cbranch_execz .LBB0_11
; %bb.10:
	v_mov_b32_e32 v0, 0
	s_lshl_b64 s[2:3], s[16:17], 2
	s_delay_alu instid0(SALU_CYCLE_1)
	s_add_nc_u64 s[4:5], s[8:9], s[2:3]
	s_add_nc_u64 s[2:3], s[10:11], s[2:3]
	s_clause 0x1
	global_store_b32 v0, v8, s[4:5]
	global_store_b32 v0, v9, s[2:3]
	ds_store_b64 v0, v[8:9] offset:16
.LBB0_11:
	s_wait_xcnt 0x0
	s_or_b32 exec_lo, exec_lo, s0
	v_mov_b32_e32 v0, 0
	s_wait_storecnt_dscnt 0x0
	s_barrier_signal -1
	s_barrier_wait -1
	ds_load_b32 v8, v0 offset:16
	s_mov_b32 s0, exec_lo
	s_wait_dscnt 0x0
	v_div_scale_f32 v9, null, v8, v8, v6
	v_div_scale_f32 v12, vcc_lo, v6, v8, v6
	s_delay_alu instid0(VALU_DEP_2) | instskip(SKIP_1) | instid1(TRANS32_DEP_1)
	v_rcp_f32_e32 v10, v9
	v_nop
	v_fma_f32 v11, -v9, v10, 1.0
	s_delay_alu instid0(VALU_DEP_1) | instskip(NEXT) | instid1(VALU_DEP_1)
	v_fmac_f32_e32 v10, v11, v10
	v_mul_f32_e32 v11, v12, v10
	s_delay_alu instid0(VALU_DEP_1) | instskip(NEXT) | instid1(VALU_DEP_1)
	v_fma_f32 v13, -v9, v11, v12
	v_fmac_f32_e32 v11, v13, v10
	s_delay_alu instid0(VALU_DEP_1) | instskip(NEXT) | instid1(VALU_DEP_1)
	v_fma_f32 v9, -v9, v11, v12
	v_div_fmas_f32 v9, v9, v10, v11
	s_delay_alu instid0(VALU_DEP_1) | instskip(SKIP_1) | instid1(VALU_DEP_2)
	v_div_fixup_f32 v9, v9, v8, v6
	v_mov_b32_e32 v6, 0
	v_cmpx_nge_f32_e32 0xbf633333, v9
	s_cbranch_execz .LBB0_17
; %bb.12:
	v_mov_b32_e32 v6, 15
	s_mov_b32 s1, exec_lo
	v_cmpx_nle_f32_e32 1.0, v9
	s_cbranch_execz .LBB0_16
; %bb.13:
	v_dual_mov_b32 v10, 15 :: v_dual_mov_b32 v6, 0
	s_mov_b32 s2, 0
.LBB0_14:                               ; =>This Inner Loop Header: Depth=1
	s_delay_alu instid0(VALU_DEP_1) | instskip(NEXT) | instid1(VALU_DEP_1)
	v_add_nc_u32_e32 v11, v6, v10
	v_lshrrev_b32_e32 v11, 1, v11
	global_load_b32 v12, v11, s[14:15] scale_offset
	s_wait_loadcnt 0x0
	v_cmp_nle_f32_e32 vcc_lo, v12, v9
	v_add_nc_u32_e32 v13, 1, v11
	s_delay_alu instid0(VALU_DEP_1) | instskip(NEXT) | instid1(VALU_DEP_1)
	v_dual_cndmask_b32 v6, v13, v6, vcc_lo :: v_dual_cndmask_b32 v10, v10, v11, vcc_lo
	v_cmp_ge_i32_e32 vcc_lo, v6, v10
	s_or_b32 s2, vcc_lo, s2
	s_delay_alu instid0(SALU_CYCLE_1)
	s_and_not1_b32 exec_lo, exec_lo, s2
	s_cbranch_execnz .LBB0_14
; %bb.15:
	s_or_b32 exec_lo, exec_lo, s2
	v_add_nc_u32_e32 v10, -1, v6
	s_get_pc_i64 s[2:3]
	s_add_nc_u64 s[2:3], s[2:3], _ZL11_exp_qmidpt@rel64+4
	global_load_b32 v11, v10, s[2:3] scale_offset
	s_wait_loadcnt 0x0
	v_cmp_lt_f32_e32 vcc_lo, v11, v9
	v_cndmask_b32_e32 v6, v10, v6, vcc_lo
	s_delay_alu instid0(VALU_DEP_1)
	v_and_b32_e32 v6, 15, v6
.LBB0_16:
	s_or_b32 exec_lo, exec_lo, s1
.LBB0_17:
	s_delay_alu instid0(SALU_CYCLE_1) | instskip(SKIP_4) | instid1(VALU_DEP_1)
	s_or_b32 exec_lo, exec_lo, s0
	ds_load_b32 v9, v0 offset:20
	s_mov_b32 s0, exec_lo
	s_wait_dscnt 0x0
	v_div_scale_f32 v10, null, v9, v9, v14
	v_rcp_f32_e32 v11, v10
	v_nop
	s_delay_alu instid0(TRANS32_DEP_1) | instskip(NEXT) | instid1(VALU_DEP_1)
	v_fma_f32 v12, -v10, v11, 1.0
	v_fmac_f32_e32 v11, v12, v11
	v_div_scale_f32 v12, vcc_lo, v14, v9, v14
	s_delay_alu instid0(VALU_DEP_1) | instskip(NEXT) | instid1(VALU_DEP_1)
	v_mul_f32_e32 v13, v12, v11
	v_fma_f32 v15, -v10, v13, v12
	s_delay_alu instid0(VALU_DEP_1) | instskip(NEXT) | instid1(VALU_DEP_1)
	v_fmac_f32_e32 v13, v15, v11
	v_fma_f32 v10, -v10, v13, v12
	s_delay_alu instid0(VALU_DEP_1) | instskip(NEXT) | instid1(VALU_DEP_1)
	v_div_fmas_f32 v10, v10, v11, v13
	v_div_fixup_f32 v10, v10, v9, v14
	s_delay_alu instid0(VALU_DEP_1)
	v_cmpx_nge_f32_e32 0x3d800000, v10
	s_cbranch_execz .LBB0_23
; %bb.18:
	v_mov_b32_e32 v0, 15
	s_mov_b32 s1, exec_lo
	v_cmpx_nle_f32_e32 1.0, v10
	s_cbranch_execz .LBB0_22
; %bb.19:
	v_dual_mov_b32 v11, 15 :: v_dual_mov_b32 v0, 0
	s_mov_b32 s2, 0
.LBB0_20:                               ; =>This Inner Loop Header: Depth=1
	s_delay_alu instid0(VALU_DEP_1) | instskip(NEXT) | instid1(VALU_DEP_1)
	v_add_nc_u32_e32 v12, v0, v11
	v_lshrrev_b32_e32 v12, 1, v12
	global_load_b32 v13, v12, s[12:13] scale_offset
	s_wait_loadcnt 0x0
	v_cmp_nle_f32_e32 vcc_lo, v13, v10
	v_dual_cndmask_b32 v11, v11, v12 :: v_dual_add_nc_u32 v14, 1, v12
	s_delay_alu instid0(VALU_DEP_1) | instskip(NEXT) | instid1(VALU_DEP_1)
	v_cndmask_b32_e32 v0, v14, v0, vcc_lo
	v_cmp_ge_i32_e32 vcc_lo, v0, v11
	s_or_b32 s2, vcc_lo, s2
	s_delay_alu instid0(SALU_CYCLE_1)
	s_and_not1_b32 exec_lo, exec_lo, s2
	s_cbranch_execnz .LBB0_20
; %bb.21:
	s_or_b32 exec_lo, exec_lo, s2
	v_add_nc_u32_e32 v11, -1, v0
	s_get_pc_i64 s[2:3]
	s_add_nc_u64 s[2:3], s[2:3], _ZL10_sq_qmidpt@rel64+4
	global_load_b32 v12, v11, s[2:3] scale_offset
	s_wait_loadcnt 0x0
	v_cmp_lt_f32_e32 vcc_lo, v12, v10
	v_cndmask_b32_e32 v0, v11, v0, vcc_lo
	s_delay_alu instid0(VALU_DEP_1)
	v_and_b32_e32 v0, 15, v0
.LBB0_22:
	s_or_b32 exec_lo, exec_lo, s1
.LBB0_23:
	s_delay_alu instid0(SALU_CYCLE_1) | instskip(SKIP_2) | instid1(VALU_DEP_2)
	s_or_b32 exec_lo, exec_lo, s0
	v_div_scale_f32 v10, null, v8, v8, v7
	v_div_scale_f32 v13, vcc_lo, v7, v8, v7
	v_rcp_f32_e32 v11, v10
	v_nop
	s_delay_alu instid0(TRANS32_DEP_1) | instskip(NEXT) | instid1(VALU_DEP_1)
	v_fma_f32 v12, -v10, v11, 1.0
	v_fmac_f32_e32 v11, v12, v11
	s_delay_alu instid0(VALU_DEP_1) | instskip(NEXT) | instid1(VALU_DEP_1)
	v_mul_f32_e32 v12, v13, v11
	v_fma_f32 v14, -v10, v12, v13
	s_delay_alu instid0(VALU_DEP_1) | instskip(NEXT) | instid1(VALU_DEP_1)
	v_fmac_f32_e32 v12, v14, v11
	v_fma_f32 v10, -v10, v12, v13
	s_delay_alu instid0(VALU_DEP_1) | instskip(NEXT) | instid1(VALU_DEP_1)
	v_div_fmas_f32 v10, v10, v11, v12
	v_div_fixup_f32 v8, v10, v8, v7
	v_mov_b32_e32 v7, 0
	s_delay_alu instid0(VALU_DEP_2) | instskip(SKIP_2) | instid1(SALU_CYCLE_1)
	v_cmp_nge_f32_e32 vcc_lo, 0xbf633333, v8
	v_cmp_nle_f32_e64 s0, 1.0, v8
	s_and_b32 s1, vcc_lo, s0
	s_and_saveexec_b32 s0, s1
	s_cbranch_execz .LBB0_27
; %bb.24:
	v_dual_mov_b32 v10, 15 :: v_dual_mov_b32 v7, 0
	s_mov_b32 s1, 0
.LBB0_25:                               ; =>This Inner Loop Header: Depth=1
	s_delay_alu instid0(VALU_DEP_1) | instskip(NEXT) | instid1(VALU_DEP_1)
	v_add_nc_u32_e32 v11, v7, v10
	v_lshrrev_b32_e32 v11, 1, v11
	global_load_b32 v12, v11, s[14:15] scale_offset
	s_wait_loadcnt 0x0
	v_cmp_nle_f32_e32 vcc_lo, v12, v8
	v_dual_cndmask_b32 v10, v10, v11 :: v_dual_add_nc_u32 v13, 1, v11
	s_delay_alu instid0(VALU_DEP_1) | instskip(NEXT) | instid1(VALU_DEP_1)
	v_cndmask_b32_e32 v7, v13, v7, vcc_lo
	v_cmp_ge_i32_e32 vcc_lo, v7, v10
	s_or_b32 s1, vcc_lo, s1
	s_delay_alu instid0(SALU_CYCLE_1)
	s_and_not1_b32 exec_lo, exec_lo, s1
	s_cbranch_execnz .LBB0_25
; %bb.26:
	s_or_b32 exec_lo, exec_lo, s1
	v_add_nc_u32_e32 v10, -1, v7
	s_get_pc_i64 s[2:3]
	s_add_nc_u64 s[2:3], s[2:3], _ZL11_exp_qmidpt@rel64+4
	global_load_b32 v11, v10, s[2:3] scale_offset
	s_wait_loadcnt 0x0
	v_cmp_lt_f32_e32 vcc_lo, v11, v8
	v_cndmask_b32_e32 v7, v10, v7, vcc_lo
	s_delay_alu instid0(VALU_DEP_1)
	v_and_b32_e32 v7, 0xf0, v7
.LBB0_27:
	s_or_b32 exec_lo, exec_lo, s0
	v_div_scale_f32 v8, null, v9, v9, v1
	v_div_scale_f32 v12, vcc_lo, v1, v9, v1
	s_delay_alu instid0(VALU_DEP_2) | instskip(SKIP_1) | instid1(TRANS32_DEP_1)
	v_rcp_f32_e32 v10, v8
	v_nop
	v_fma_f32 v11, -v8, v10, 1.0
	s_delay_alu instid0(VALU_DEP_1) | instskip(NEXT) | instid1(VALU_DEP_1)
	v_fmac_f32_e32 v10, v11, v10
	v_mul_f32_e32 v11, v12, v10
	s_delay_alu instid0(VALU_DEP_1) | instskip(NEXT) | instid1(VALU_DEP_1)
	v_fma_f32 v13, -v8, v11, v12
	v_fmac_f32_e32 v11, v13, v10
	s_delay_alu instid0(VALU_DEP_1) | instskip(NEXT) | instid1(VALU_DEP_1)
	v_fma_f32 v8, -v8, v11, v12
	v_div_fmas_f32 v8, v8, v10, v11
	s_delay_alu instid0(VALU_DEP_1) | instskip(SKIP_1) | instid1(VALU_DEP_2)
	v_div_fixup_f32 v1, v8, v9, v1
	v_mov_b32_e32 v8, 0
	v_cmp_nge_f32_e32 vcc_lo, 0x3d800000, v1
	v_cmp_nle_f32_e64 s0, 1.0, v1
	s_and_b32 s1, vcc_lo, s0
	s_delay_alu instid0(SALU_CYCLE_1)
	s_and_saveexec_b32 s0, s1
	s_cbranch_execz .LBB0_31
; %bb.28:
	v_dual_mov_b32 v9, 15 :: v_dual_mov_b32 v8, 0
	s_mov_b32 s1, 0
.LBB0_29:                               ; =>This Inner Loop Header: Depth=1
	s_delay_alu instid0(VALU_DEP_1) | instskip(NEXT) | instid1(VALU_DEP_1)
	v_add_nc_u32_e32 v10, v8, v9
	v_lshrrev_b32_e32 v10, 1, v10
	global_load_b32 v11, v10, s[12:13] scale_offset
	s_wait_loadcnt 0x0
	v_cmp_nle_f32_e32 vcc_lo, v11, v1
	v_add_nc_u32_e32 v12, 1, v10
	s_delay_alu instid0(VALU_DEP_1) | instskip(NEXT) | instid1(VALU_DEP_1)
	v_dual_cndmask_b32 v8, v12, v8 :: v_dual_cndmask_b32 v9, v9, v10
	v_cmp_ge_i32_e32 vcc_lo, v8, v9
	s_or_b32 s1, vcc_lo, s1
	s_delay_alu instid0(SALU_CYCLE_1)
	s_and_not1_b32 exec_lo, exec_lo, s1
	s_cbranch_execnz .LBB0_29
; %bb.30:
	s_or_b32 exec_lo, exec_lo, s1
	v_add_nc_u32_e32 v9, -1, v8
	s_get_pc_i64 s[2:3]
	s_add_nc_u64 s[2:3], s[2:3], _ZL10_sq_qmidpt@rel64+4
	global_load_b32 v10, v9, s[2:3] scale_offset
	s_wait_loadcnt 0x0
	v_cmp_lt_f32_e32 vcc_lo, v10, v1
	v_cndmask_b32_e32 v1, v9, v8, vcc_lo
	s_delay_alu instid0(VALU_DEP_1)
	v_and_b32_e32 v8, 0xf0, v1
.LBB0_31:
	s_or_b32 exec_lo, exec_lo, s0
	v_or_b32_e32 v1, v7, v6
	s_delay_alu instid0(VALU_DEP_2)
	v_or_b32_e32 v0, v8, v0
	global_store_b8 v[4:5], v1, off
	global_store_b8 v[2:3], v0, off
.LBB0_32:
	s_endpgm
	.section	.rodata,"a",@progbits
	.p2align	6, 0x0
	.amdhsa_kernel _Z17fused_4bit_kernelIfLi64EEvPT_PKS0_S1_S1_PaS4_fffffflffffff
		.amdhsa_group_segment_fixed_size 24
		.amdhsa_private_segment_fixed_size 0
		.amdhsa_kernarg_size 360
		.amdhsa_user_sgpr_count 2
		.amdhsa_user_sgpr_dispatch_ptr 0
		.amdhsa_user_sgpr_queue_ptr 0
		.amdhsa_user_sgpr_kernarg_segment_ptr 1
		.amdhsa_user_sgpr_dispatch_id 0
		.amdhsa_user_sgpr_kernarg_preload_length 0
		.amdhsa_user_sgpr_kernarg_preload_offset 0
		.amdhsa_user_sgpr_private_segment_size 0
		.amdhsa_wavefront_size32 1
		.amdhsa_uses_dynamic_stack 0
		.amdhsa_enable_private_segment 0
		.amdhsa_system_sgpr_workgroup_id_x 1
		.amdhsa_system_sgpr_workgroup_id_y 0
		.amdhsa_system_sgpr_workgroup_id_z 0
		.amdhsa_system_sgpr_workgroup_info 0
		.amdhsa_system_vgpr_workitem_id 0
		.amdhsa_next_free_vgpr 28
		.amdhsa_next_free_sgpr 22
		.amdhsa_named_barrier_count 0
		.amdhsa_reserve_vcc 1
		.amdhsa_float_round_mode_32 0
		.amdhsa_float_round_mode_16_64 0
		.amdhsa_float_denorm_mode_32 3
		.amdhsa_float_denorm_mode_16_64 3
		.amdhsa_fp16_overflow 0
		.amdhsa_memory_ordered 1
		.amdhsa_forward_progress 1
		.amdhsa_inst_pref_size 24
		.amdhsa_round_robin_scheduling 0
		.amdhsa_exception_fp_ieee_invalid_op 0
		.amdhsa_exception_fp_denorm_src 0
		.amdhsa_exception_fp_ieee_div_zero 0
		.amdhsa_exception_fp_ieee_overflow 0
		.amdhsa_exception_fp_ieee_underflow 0
		.amdhsa_exception_fp_ieee_inexact 0
		.amdhsa_exception_int_div_zero 0
	.end_amdhsa_kernel
	.section	.text._Z17fused_4bit_kernelIfLi64EEvPT_PKS0_S1_S1_PaS4_fffffflffffff,"axG",@progbits,_Z17fused_4bit_kernelIfLi64EEvPT_PKS0_S1_S1_PaS4_fffffflffffff,comdat
.Lfunc_end0:
	.size	_Z17fused_4bit_kernelIfLi64EEvPT_PKS0_S1_S1_PaS4_fffffflffffff, .Lfunc_end0-_Z17fused_4bit_kernelIfLi64EEvPT_PKS0_S1_S1_PaS4_fffffflffffff
                                        ; -- End function
	.set _Z17fused_4bit_kernelIfLi64EEvPT_PKS0_S1_S1_PaS4_fffffflffffff.num_vgpr, 28
	.set _Z17fused_4bit_kernelIfLi64EEvPT_PKS0_S1_S1_PaS4_fffffflffffff.num_agpr, 0
	.set _Z17fused_4bit_kernelIfLi64EEvPT_PKS0_S1_S1_PaS4_fffffflffffff.numbered_sgpr, 22
	.set _Z17fused_4bit_kernelIfLi64EEvPT_PKS0_S1_S1_PaS4_fffffflffffff.num_named_barrier, 0
	.set _Z17fused_4bit_kernelIfLi64EEvPT_PKS0_S1_S1_PaS4_fffffflffffff.private_seg_size, 0
	.set _Z17fused_4bit_kernelIfLi64EEvPT_PKS0_S1_S1_PaS4_fffffflffffff.uses_vcc, 1
	.set _Z17fused_4bit_kernelIfLi64EEvPT_PKS0_S1_S1_PaS4_fffffflffffff.uses_flat_scratch, 0
	.set _Z17fused_4bit_kernelIfLi64EEvPT_PKS0_S1_S1_PaS4_fffffflffffff.has_dyn_sized_stack, 0
	.set _Z17fused_4bit_kernelIfLi64EEvPT_PKS0_S1_S1_PaS4_fffffflffffff.has_recursion, 0
	.set _Z17fused_4bit_kernelIfLi64EEvPT_PKS0_S1_S1_PaS4_fffffflffffff.has_indirect_call, 0
	.section	.AMDGPU.csdata,"",@progbits
; Kernel info:
; codeLenInByte = 3052
; TotalNumSgprs: 24
; NumVgprs: 28
; ScratchSize: 0
; MemoryBound: 0
; FloatMode: 240
; IeeeMode: 1
; LDSByteSize: 24 bytes/workgroup (compile time only)
; SGPRBlocks: 0
; VGPRBlocks: 1
; NumSGPRsForWavesPerEU: 24
; NumVGPRsForWavesPerEU: 28
; NamedBarCnt: 0
; Occupancy: 16
; WaveLimiterHint : 0
; COMPUTE_PGM_RSRC2:SCRATCH_EN: 0
; COMPUTE_PGM_RSRC2:USER_SGPR: 2
; COMPUTE_PGM_RSRC2:TRAP_HANDLER: 0
; COMPUTE_PGM_RSRC2:TGID_X_EN: 1
; COMPUTE_PGM_RSRC2:TGID_Y_EN: 0
; COMPUTE_PGM_RSRC2:TGID_Z_EN: 0
; COMPUTE_PGM_RSRC2:TIDIG_COMP_CNT: 0
	.section	.AMDGPU.gpr_maximums,"",@progbits
	.set amdgpu.max_num_vgpr, 0
	.set amdgpu.max_num_agpr, 0
	.set amdgpu.max_num_sgpr, 0
	.section	.AMDGPU.csdata,"",@progbits
	.type	_ZL9_exp_qmap,@object           ; @_ZL9_exp_qmap
	.section	.rodata,"a",@progbits
	.p2align	4, 0x0
_ZL9_exp_qmap:
	.long	0xbf633333                      ; float -0.887499988
	.long	0xbf29999a                      ; float -0.662500024
	;; [unrolled: 1-line block ×7, first 2 shown]
	.long	0x00000000                      ; float 0
	.long	0x3bb43958                      ; float 0.00549999997
	.long	0x3d051eb8                      ; float 0.0324999988
	;; [unrolled: 1-line block ×7, first 2 shown]
	.long	0x3f800000                      ; float 1
	.size	_ZL9_exp_qmap, 64

	.type	_ZL8_sq_qmap,@object            ; @_ZL8_sq_qmap
	.p2align	4, 0x0
_ZL8_sq_qmap:
	.long	0x3d800000                      ; float 0.0625
	.long	0x3e000000                      ; float 0.125
	;; [unrolled: 1-line block ×15, first 2 shown]
	.long	0x3f800000                      ; float 1
	.size	_ZL8_sq_qmap, 64

	.type	_ZL11_exp_qmidpt,@object        ; @_ZL11_exp_qmidpt
	.p2align	4, 0x0
_ZL11_exp_qmidpt:
	.long	0xbf466666                      ; float -0.774999976
	.long	0xbf0ccccd                      ; float -0.550000012
	;; [unrolled: 1-line block ×7, first 2 shown]
	.long	0x3b343958                      ; float 0.00274999999
	.long	0x3c9ba5e3                      ; float 0.0189999994
	;; [unrolled: 1-line block ×8, first 2 shown]
	.size	_ZL11_exp_qmidpt, 60

	.type	_ZL10_sq_qmidpt,@object         ; @_ZL10_sq_qmidpt
	.p2align	4, 0x0
_ZL10_sq_qmidpt:
	.long	0x3dc00000                      ; float 0.09375
	.long	0x3e200000                      ; float 0.15625
	;; [unrolled: 1-line block ×15, first 2 shown]
	.size	_ZL10_sq_qmidpt, 60

	.type	__hip_cuid_4bcb9abc83c20a57,@object ; @__hip_cuid_4bcb9abc83c20a57
	.section	.bss,"aw",@nobits
	.globl	__hip_cuid_4bcb9abc83c20a57
__hip_cuid_4bcb9abc83c20a57:
	.byte	0                               ; 0x0
	.size	__hip_cuid_4bcb9abc83c20a57, 1

	.ident	"AMD clang version 22.0.0git (https://github.com/RadeonOpenCompute/llvm-project roc-7.2.4 26084 f58b06dce1f9c15707c5f808fd002e18c2accf7e)"
	.section	".note.GNU-stack","",@progbits
	.addrsig
	.addrsig_sym __hip_cuid_4bcb9abc83c20a57
	.amdgpu_metadata
---
amdhsa.kernels:
  - .args:
      - .address_space:  global
        .offset:         0
        .size:           8
        .value_kind:     global_buffer
      - .actual_access:  read_only
        .address_space:  global
        .offset:         8
        .size:           8
        .value_kind:     global_buffer
      - .address_space:  global
        .offset:         16
        .size:           8
        .value_kind:     global_buffer
      - .address_space:  global
        .offset:         24
        .size:           8
        .value_kind:     global_buffer
      - .address_space:  global
        .offset:         32
        .size:           8
        .value_kind:     global_buffer
      - .address_space:  global
        .offset:         40
        .size:           8
        .value_kind:     global_buffer
      - .offset:         48
        .size:           4
        .value_kind:     by_value
      - .offset:         52
        .size:           4
        .value_kind:     by_value
      - .offset:         56
        .size:           4
        .value_kind:     by_value
      - .offset:         60
        .size:           4
        .value_kind:     by_value
      - .offset:         64
        .size:           4
        .value_kind:     by_value
      - .offset:         68
        .size:           4
        .value_kind:     by_value
      - .offset:         72
        .size:           8
        .value_kind:     by_value
      - .offset:         80
        .size:           4
        .value_kind:     by_value
      - .offset:         84
        .size:           4
        .value_kind:     by_value
      - .offset:         88
        .size:           4
        .value_kind:     by_value
      - .offset:         92
        .size:           4
        .value_kind:     by_value
      - .offset:         96
        .size:           4
        .value_kind:     by_value
      - .offset:         100
        .size:           4
        .value_kind:     by_value
      - .offset:         104
        .size:           4
        .value_kind:     hidden_block_count_x
      - .offset:         108
        .size:           4
        .value_kind:     hidden_block_count_y
      - .offset:         112
        .size:           4
        .value_kind:     hidden_block_count_z
      - .offset:         116
        .size:           2
        .value_kind:     hidden_group_size_x
      - .offset:         118
        .size:           2
        .value_kind:     hidden_group_size_y
      - .offset:         120
        .size:           2
        .value_kind:     hidden_group_size_z
      - .offset:         122
        .size:           2
        .value_kind:     hidden_remainder_x
      - .offset:         124
        .size:           2
        .value_kind:     hidden_remainder_y
      - .offset:         126
        .size:           2
        .value_kind:     hidden_remainder_z
      - .offset:         144
        .size:           8
        .value_kind:     hidden_global_offset_x
      - .offset:         152
        .size:           8
        .value_kind:     hidden_global_offset_y
      - .offset:         160
        .size:           8
        .value_kind:     hidden_global_offset_z
      - .offset:         168
        .size:           2
        .value_kind:     hidden_grid_dims
    .group_segment_fixed_size: 24
    .kernarg_segment_align: 8
    .kernarg_segment_size: 360
    .language:       OpenCL C
    .language_version:
      - 2
      - 0
    .max_flat_workgroup_size: 1024
    .name:           _Z17fused_4bit_kernelIfLi64EEvPT_PKS0_S1_S1_PaS4_fffffflffffff
    .private_segment_fixed_size: 0
    .sgpr_count:     24
    .sgpr_spill_count: 0
    .symbol:         _Z17fused_4bit_kernelIfLi64EEvPT_PKS0_S1_S1_PaS4_fffffflffffff.kd
    .uniform_work_group_size: 1
    .uses_dynamic_stack: false
    .vgpr_count:     28
    .vgpr_spill_count: 0
    .wavefront_size: 32
amdhsa.target:   amdgcn-amd-amdhsa--gfx1250
amdhsa.version:
  - 1
  - 2
...

	.end_amdgpu_metadata
